;; amdgpu-corpus repo=ROCm/rocFFT kind=compiled arch=gfx1201 opt=O3
	.text
	.amdgcn_target "amdgcn-amd-amdhsa--gfx1201"
	.amdhsa_code_object_version 6
	.protected	fft_rtc_back_len216_factors_6_6_6_wgs_324_tpt_36_dp_ip_CI_sbcc_twdbase8_2step_dirReg ; -- Begin function fft_rtc_back_len216_factors_6_6_6_wgs_324_tpt_36_dp_ip_CI_sbcc_twdbase8_2step_dirReg
	.globl	fft_rtc_back_len216_factors_6_6_6_wgs_324_tpt_36_dp_ip_CI_sbcc_twdbase8_2step_dirReg
	.p2align	8
	.type	fft_rtc_back_len216_factors_6_6_6_wgs_324_tpt_36_dp_ip_CI_sbcc_twdbase8_2step_dirReg,@function
fft_rtc_back_len216_factors_6_6_6_wgs_324_tpt_36_dp_ip_CI_sbcc_twdbase8_2step_dirReg: ; @fft_rtc_back_len216_factors_6_6_6_wgs_324_tpt_36_dp_ip_CI_sbcc_twdbase8_2step_dirReg
; %bb.0:
	s_load_b128 s[12:15], s[0:1], 0x18
	s_mov_b32 s19, 0
	s_mov_b32 s2, 0x71c4fc00
	s_movk_i32 s3, 0x7c
	s_mov_b32 s18, s19
	s_mov_b64 s[26:27], 0
	s_add_nc_u64 s[4:5], s[18:19], s[2:3]
	s_delay_alu instid0(SALU_CYCLE_1) | instskip(NEXT) | instid1(SALU_CYCLE_1)
	s_add_co_i32 s5, s5, 0x1c71c6a0
	s_mul_u64 s[6:7], s[4:5], -9
	s_delay_alu instid0(SALU_CYCLE_1)
	s_mul_hi_u32 s9, s4, s7
	s_mul_i32 s8, s4, s7
	s_mul_hi_u32 s18, s4, s6
	s_mul_i32 s11, s5, s6
	s_add_nc_u64 s[8:9], s[18:19], s[8:9]
	s_mul_hi_u32 s10, s5, s6
	s_mul_hi_u32 s16, s5, s7
	s_mul_i32 s6, s5, s7
	s_wait_kmcnt 0x0
	s_load_b64 s[2:3], s[12:13], 0x8
	s_add_co_u32 s7, s8, s11
	s_add_co_ci_u32 s18, s9, s10
	s_add_co_ci_u32 s7, s16, 0
	s_delay_alu instid0(SALU_CYCLE_1) | instskip(NEXT) | instid1(SALU_CYCLE_1)
	s_add_nc_u64 s[6:7], s[18:19], s[6:7]
	v_add_co_u32 v1, s4, s4, s6
	s_delay_alu instid0(VALU_DEP_1) | instskip(SKIP_1) | instid1(VALU_DEP_1)
	s_cmp_lg_u32 s4, 0
	s_add_co_ci_u32 s8, s5, s7
	v_readfirstlane_b32 s9, v1
	s_wait_kmcnt 0x0
	s_add_nc_u64 s[4:5], s[2:3], -1
	s_wait_alu 0xfffe
	s_mul_hi_u32 s7, s4, s8
	s_mul_i32 s6, s4, s8
	s_mul_hi_u32 s18, s4, s9
	s_mul_hi_u32 s11, s5, s9
	s_mul_i32 s9, s5, s9
	s_wait_alu 0xfffe
	s_add_nc_u64 s[6:7], s[18:19], s[6:7]
	s_mul_hi_u32 s10, s5, s8
	s_wait_alu 0xfffe
	s_add_co_u32 s6, s6, s9
	s_add_co_ci_u32 s18, s7, s11
	s_mul_i32 s8, s5, s8
	s_add_co_ci_u32 s9, s10, 0
	s_delay_alu instid0(SALU_CYCLE_1) | instskip(SKIP_3) | instid1(SALU_CYCLE_1)
	s_add_nc_u64 s[6:7], s[18:19], s[8:9]
	s_mov_b32 s18, ttmp9
	s_wait_alu 0xfffe
	s_mul_u64 s[8:9], s[6:7], 9
	v_sub_co_u32 v1, s4, s4, s8
	s_delay_alu instid0(VALU_DEP_1) | instskip(SKIP_1) | instid1(VALU_DEP_1)
	s_cmp_lg_u32 s4, 0
	s_sub_co_ci_u32 s10, s5, s9
	v_sub_co_u32 v2, s8, v1, 9
	s_delay_alu instid0(VALU_DEP_1) | instskip(SKIP_2) | instid1(VALU_DEP_2)
	s_cmp_lg_u32 s8, 0
	v_readfirstlane_b32 s16, v1
	s_sub_co_ci_u32 s8, s10, 0
	v_readfirstlane_b32 s4, v2
	s_delay_alu instid0(VALU_DEP_1)
	s_cmp_gt_u32 s4, 8
	s_add_nc_u64 s[4:5], s[6:7], 1
	s_cselect_b32 s11, -1, 0
	s_wait_alu 0xfffe
	s_cmp_eq_u32 s8, 0
	s_add_nc_u64 s[8:9], s[6:7], 2
	s_cselect_b32 s11, s11, -1
	s_delay_alu instid0(SALU_CYCLE_1)
	s_cmp_lg_u32 s11, 0
	s_wait_alu 0xfffe
	s_cselect_b32 s4, s8, s4
	s_cselect_b32 s5, s9, s5
	s_cmp_gt_u32 s16, 8
	s_cselect_b32 s8, -1, 0
	s_cmp_eq_u32 s10, 0
	s_wait_alu 0xfffe
	s_cselect_b32 s8, s8, -1
	s_wait_alu 0xfffe
	s_cmp_lg_u32 s8, 0
	s_cselect_b32 s5, s5, s7
	s_cselect_b32 s4, s4, s6
	s_wait_alu 0xfffe
	s_add_nc_u64 s[20:21], s[4:5], 1
	s_delay_alu instid0(SALU_CYCLE_1) | instskip(NEXT) | instid1(VALU_DEP_1)
	v_cmp_lt_u64_e64 s4, s[18:19], s[20:21]
	s_and_b32 vcc_lo, exec_lo, s4
	s_cbranch_vccnz .LBB0_2
; %bb.1:
	v_cvt_f32_u32_e32 v1, s20
	s_sub_co_i32 s5, 0, s20
	s_mov_b32 s27, s19
	s_delay_alu instid0(VALU_DEP_1) | instskip(NEXT) | instid1(TRANS32_DEP_1)
	v_rcp_iflag_f32_e32 v1, v1
	v_mul_f32_e32 v1, 0x4f7ffffe, v1
	s_delay_alu instid0(VALU_DEP_1) | instskip(NEXT) | instid1(VALU_DEP_1)
	v_cvt_u32_f32_e32 v1, v1
	v_readfirstlane_b32 s4, v1
	s_wait_alu 0xfffe
	s_delay_alu instid0(VALU_DEP_1)
	s_mul_i32 s5, s5, s4
	s_wait_alu 0xfffe
	s_mul_hi_u32 s5, s4, s5
	s_wait_alu 0xfffe
	s_add_co_i32 s4, s4, s5
	s_wait_alu 0xfffe
	s_mul_hi_u32 s4, s18, s4
	s_wait_alu 0xfffe
	s_mul_i32 s5, s4, s20
	s_add_co_i32 s6, s4, 1
	s_wait_alu 0xfffe
	s_sub_co_i32 s5, s18, s5
	s_wait_alu 0xfffe
	s_sub_co_i32 s7, s5, s20
	s_cmp_ge_u32 s5, s20
	s_cselect_b32 s4, s6, s4
	s_wait_alu 0xfffe
	s_cselect_b32 s5, s7, s5
	s_add_co_i32 s6, s4, 1
	s_wait_alu 0xfffe
	s_cmp_ge_u32 s5, s20
	s_cselect_b32 s26, s6, s4
.LBB0_2:
	s_load_b128 s[8:11], s[0:1], 0x8
	s_load_b128 s[4:7], s[14:15], 0x0
	s_load_b64 s[16:17], s[0:1], 0x0
	s_mul_u64 s[22:23], s[26:27], s[20:21]
	s_delay_alu instid0(SALU_CYCLE_1) | instskip(NEXT) | instid1(SALU_CYCLE_1)
	s_sub_nc_u64 s[22:23], s[18:19], s[22:23]
	s_mul_u64 s[24:25], s[22:23], 9
	s_wait_kmcnt 0x0
	v_cmp_lt_u64_e64 s28, s[10:11], 3
	s_mul_u64 s[22:23], s[6:7], s[24:25]
	s_delay_alu instid0(VALU_DEP_1)
	s_and_b32 vcc_lo, exec_lo, s28
	s_cbranch_vccnz .LBB0_12
; %bb.3:
	s_add_nc_u64 s[28:29], s[14:15], 16
	s_add_nc_u64 s[12:13], s[12:13], 16
	s_mov_b64 s[30:31], 2
	s_mov_b32 s34, 0
.LBB0_4:                                ; =>This Inner Loop Header: Depth=1
	s_load_b64 s[36:37], s[12:13], 0x0
                                        ; implicit-def: $sgpr40_sgpr41
	s_wait_kmcnt 0x0
	s_or_b64 s[38:39], s[26:27], s[36:37]
	s_delay_alu instid0(SALU_CYCLE_1)
	s_mov_b32 s35, s39
	s_mov_b32 s39, -1
	s_cmp_lg_u64 s[34:35], 0
	s_cbranch_scc0 .LBB0_6
; %bb.5:                                ;   in Loop: Header=BB0_4 Depth=1
	s_cvt_f32_u32 s33, s36
	s_cvt_f32_u32 s35, s37
	s_sub_nc_u64 s[42:43], 0, s[36:37]
	s_mov_b32 s39, 0
	s_mov_b32 s47, s34
	s_wait_alu 0xfffe
	s_fmamk_f32 s33, s35, 0x4f800000, s33
	s_wait_alu 0xfffe
	s_delay_alu instid0(SALU_CYCLE_2) | instskip(NEXT) | instid1(TRANS32_DEP_1)
	v_s_rcp_f32 s33, s33
	s_mul_f32 s33, s33, 0x5f7ffffc
	s_wait_alu 0xfffe
	s_delay_alu instid0(SALU_CYCLE_2) | instskip(NEXT) | instid1(SALU_CYCLE_3)
	s_mul_f32 s35, s33, 0x2f800000
	s_trunc_f32 s35, s35
	s_delay_alu instid0(SALU_CYCLE_3) | instskip(SKIP_2) | instid1(SALU_CYCLE_1)
	s_fmamk_f32 s33, s35, 0xcf800000, s33
	s_cvt_u32_f32 s41, s35
	s_wait_alu 0xfffe
	s_cvt_u32_f32 s40, s33
	s_wait_alu 0xfffe
	s_delay_alu instid0(SALU_CYCLE_2)
	s_mul_u64 s[44:45], s[42:43], s[40:41]
	s_wait_alu 0xfffe
	s_mul_hi_u32 s49, s40, s45
	s_mul_i32 s48, s40, s45
	s_mul_hi_u32 s38, s40, s44
	s_mul_i32 s35, s41, s44
	s_add_nc_u64 s[48:49], s[38:39], s[48:49]
	s_mul_hi_u32 s33, s41, s44
	s_mul_hi_u32 s50, s41, s45
	s_add_co_u32 s35, s48, s35
	s_wait_alu 0xfffe
	s_add_co_ci_u32 s46, s49, s33
	s_mul_i32 s44, s41, s45
	s_add_co_ci_u32 s45, s50, 0
	s_wait_alu 0xfffe
	s_add_nc_u64 s[44:45], s[46:47], s[44:45]
	s_wait_alu 0xfffe
	v_add_co_u32 v1, s33, s40, s44
	s_delay_alu instid0(VALU_DEP_1) | instskip(SKIP_1) | instid1(VALU_DEP_1)
	s_cmp_lg_u32 s33, 0
	s_add_co_ci_u32 s41, s41, s45
	v_readfirstlane_b32 s40, v1
	s_mov_b32 s45, s34
	s_wait_alu 0xfffe
	s_delay_alu instid0(VALU_DEP_1)
	s_mul_u64 s[42:43], s[42:43], s[40:41]
	s_wait_alu 0xfffe
	s_mul_hi_u32 s47, s40, s43
	s_mul_i32 s46, s40, s43
	s_mul_hi_u32 s38, s40, s42
	s_mul_i32 s35, s41, s42
	s_add_nc_u64 s[46:47], s[38:39], s[46:47]
	s_mul_hi_u32 s33, s41, s42
	s_mul_hi_u32 s40, s41, s43
	s_add_co_u32 s35, s46, s35
	s_wait_alu 0xfffe
	s_add_co_ci_u32 s44, s47, s33
	s_mul_i32 s42, s41, s43
	s_add_co_ci_u32 s43, s40, 0
	s_wait_alu 0xfffe
	s_add_nc_u64 s[42:43], s[44:45], s[42:43]
	s_wait_alu 0xfffe
	v_add_co_u32 v1, s33, v1, s42
	s_delay_alu instid0(VALU_DEP_1) | instskip(SKIP_1) | instid1(VALU_DEP_1)
	s_cmp_lg_u32 s33, 0
	s_add_co_ci_u32 s33, s41, s43
	v_readfirstlane_b32 s35, v1
	s_wait_alu 0xfffe
	s_mul_hi_u32 s41, s26, s33
	s_mul_i32 s40, s26, s33
	s_mul_hi_u32 s43, s27, s33
	s_mul_i32 s42, s27, s33
	;; [unrolled: 2-line block ×3, first 2 shown]
	s_wait_alu 0xfffe
	s_add_nc_u64 s[40:41], s[38:39], s[40:41]
	s_mul_hi_u32 s35, s27, s35
	s_wait_alu 0xfffe
	s_add_co_u32 s33, s40, s33
	s_add_co_ci_u32 s44, s41, s35
	s_add_co_ci_u32 s43, s43, 0
	s_wait_alu 0xfffe
	s_add_nc_u64 s[40:41], s[44:45], s[42:43]
	s_wait_alu 0xfffe
	s_mul_u64 s[42:43], s[36:37], s[40:41]
	s_add_nc_u64 s[44:45], s[40:41], 1
	s_wait_alu 0xfffe
	v_sub_co_u32 v1, s33, s26, s42
	s_sub_co_i32 s35, s27, s43
	s_cmp_lg_u32 s33, 0
	s_add_nc_u64 s[46:47], s[40:41], 2
	s_delay_alu instid0(VALU_DEP_1) | instskip(SKIP_2) | instid1(VALU_DEP_1)
	v_sub_co_u32 v2, s38, v1, s36
	s_sub_co_ci_u32 s35, s35, s37
	s_cmp_lg_u32 s38, 0
	v_readfirstlane_b32 s38, v2
	s_sub_co_ci_u32 s35, s35, 0
	s_delay_alu instid0(SALU_CYCLE_1) | instskip(SKIP_1) | instid1(VALU_DEP_1)
	s_cmp_ge_u32 s35, s37
	s_cselect_b32 s42, -1, 0
	s_cmp_ge_u32 s38, s36
	s_cselect_b32 s38, -1, 0
	s_cmp_eq_u32 s35, s37
	s_wait_alu 0xfffe
	s_cselect_b32 s35, s38, s42
	s_delay_alu instid0(SALU_CYCLE_1)
	s_cmp_lg_u32 s35, 0
	s_cselect_b32 s35, s46, s44
	s_cselect_b32 s38, s47, s45
	s_cmp_lg_u32 s33, 0
	v_readfirstlane_b32 s33, v1
	s_sub_co_ci_u32 s42, s27, s43
	s_wait_alu 0xfffe
	s_cmp_ge_u32 s42, s37
	s_cselect_b32 s43, -1, 0
	s_cmp_ge_u32 s33, s36
	s_cselect_b32 s33, -1, 0
	s_cmp_eq_u32 s42, s37
	s_wait_alu 0xfffe
	s_cselect_b32 s33, s33, s43
	s_wait_alu 0xfffe
	s_cmp_lg_u32 s33, 0
	s_cselect_b32 s41, s38, s41
	s_cselect_b32 s40, s35, s40
.LBB0_6:                                ;   in Loop: Header=BB0_4 Depth=1
	s_and_not1_b32 vcc_lo, exec_lo, s39
	s_cbranch_vccnz .LBB0_8
; %bb.7:                                ;   in Loop: Header=BB0_4 Depth=1
	v_cvt_f32_u32_e32 v1, s36
	s_sub_co_i32 s35, 0, s36
	s_mov_b32 s41, s34
	s_delay_alu instid0(VALU_DEP_1) | instskip(NEXT) | instid1(TRANS32_DEP_1)
	v_rcp_iflag_f32_e32 v1, v1
	v_mul_f32_e32 v1, 0x4f7ffffe, v1
	s_delay_alu instid0(VALU_DEP_1) | instskip(NEXT) | instid1(VALU_DEP_1)
	v_cvt_u32_f32_e32 v1, v1
	v_readfirstlane_b32 s33, v1
	s_delay_alu instid0(VALU_DEP_1) | instskip(NEXT) | instid1(SALU_CYCLE_1)
	s_mul_i32 s35, s35, s33
	s_mul_hi_u32 s35, s33, s35
	s_delay_alu instid0(SALU_CYCLE_1)
	s_add_co_i32 s33, s33, s35
	s_wait_alu 0xfffe
	s_mul_hi_u32 s33, s26, s33
	s_wait_alu 0xfffe
	s_mul_i32 s35, s33, s36
	s_add_co_i32 s38, s33, 1
	s_sub_co_i32 s35, s26, s35
	s_delay_alu instid0(SALU_CYCLE_1)
	s_sub_co_i32 s39, s35, s36
	s_cmp_ge_u32 s35, s36
	s_cselect_b32 s33, s38, s33
	s_cselect_b32 s35, s39, s35
	s_wait_alu 0xfffe
	s_add_co_i32 s38, s33, 1
	s_cmp_ge_u32 s35, s36
	s_cselect_b32 s40, s38, s33
.LBB0_8:                                ;   in Loop: Header=BB0_4 Depth=1
	s_load_b64 s[38:39], s[28:29], 0x0
	s_add_nc_u64 s[30:31], s[30:31], 1
	s_mul_u64 s[20:21], s[36:37], s[20:21]
	s_wait_alu 0xfffe
	v_cmp_ge_u64_e64 s33, s[30:31], s[10:11]
	s_mul_u64 s[36:37], s[40:41], s[36:37]
	s_add_nc_u64 s[28:29], s[28:29], 8
	s_wait_alu 0xfffe
	s_sub_nc_u64 s[26:27], s[26:27], s[36:37]
	s_add_nc_u64 s[12:13], s[12:13], 8
	s_and_b32 vcc_lo, exec_lo, s33
	s_wait_kmcnt 0x0
	s_wait_alu 0xfffe
	s_mul_u64 s[26:27], s[38:39], s[26:27]
	s_wait_alu 0xfffe
	s_add_nc_u64 s[22:23], s[26:27], s[22:23]
	s_cbranch_vccnz .LBB0_10
; %bb.9:                                ;   in Loop: Header=BB0_4 Depth=1
	s_mov_b64 s[26:27], s[40:41]
	s_branch .LBB0_4
.LBB0_10:
	v_cmp_lt_u64_e64 s12, s[18:19], s[20:21]
	s_mov_b64 s[26:27], 0
	s_delay_alu instid0(VALU_DEP_1)
	s_and_b32 vcc_lo, exec_lo, s12
	s_cbranch_vccnz .LBB0_12
; %bb.11:
	v_cvt_f32_u32_e32 v1, s20
	s_sub_co_i32 s13, 0, s20
	s_mov_b32 s27, 0
	s_delay_alu instid0(VALU_DEP_1) | instskip(NEXT) | instid1(TRANS32_DEP_1)
	v_rcp_iflag_f32_e32 v1, v1
	v_mul_f32_e32 v1, 0x4f7ffffe, v1
	s_delay_alu instid0(VALU_DEP_1) | instskip(NEXT) | instid1(VALU_DEP_1)
	v_cvt_u32_f32_e32 v1, v1
	v_readfirstlane_b32 s12, v1
	s_delay_alu instid0(VALU_DEP_1) | instskip(NEXT) | instid1(SALU_CYCLE_1)
	s_mul_i32 s13, s13, s12
	s_mul_hi_u32 s13, s12, s13
	s_delay_alu instid0(SALU_CYCLE_1) | instskip(NEXT) | instid1(SALU_CYCLE_1)
	s_add_co_i32 s12, s12, s13
	s_mul_hi_u32 s12, s18, s12
	s_delay_alu instid0(SALU_CYCLE_1) | instskip(NEXT) | instid1(SALU_CYCLE_1)
	s_mul_i32 s13, s12, s20
	s_sub_co_i32 s13, s18, s13
	s_add_co_i32 s18, s12, 1
	s_sub_co_i32 s19, s13, s20
	s_cmp_ge_u32 s13, s20
	s_wait_alu 0xfffe
	s_cselect_b32 s12, s18, s12
	s_cselect_b32 s13, s19, s13
	s_add_co_i32 s18, s12, 1
	s_cmp_ge_u32 s13, s20
	s_wait_alu 0xfffe
	s_cselect_b32 s26, s18, s12
.LBB0_12:
	v_mul_u32_u24_e32 v1, 0x1c72, v0
	s_lshl_b64 s[10:11], s[10:11], 3
	s_load_b64 s[0:1], s[0:1], 0x58
	s_add_nc_u64 s[10:11], s[14:15], s[10:11]
                                        ; implicit-def: $vgpr3_vgpr4
                                        ; implicit-def: $vgpr7_vgpr8
                                        ; implicit-def: $vgpr19_vgpr20
                                        ; implicit-def: $vgpr11_vgpr12
                                        ; implicit-def: $vgpr23_vgpr24
                                        ; implicit-def: $vgpr15_vgpr16
	s_load_b64 s[10:11], s[10:11], 0x0
	v_lshrrev_b32_e32 v28, 16, v1
	s_delay_alu instid0(VALU_DEP_1) | instskip(NEXT) | instid1(VALU_DEP_1)
	v_mul_lo_u16 v1, v28, 9
	v_sub_nc_u16 v1, v0, v1
	s_delay_alu instid0(VALU_DEP_1) | instskip(NEXT) | instid1(VALU_DEP_1)
	v_and_b32_e32 v27, 0xffff, v1
                                        ; kill: def $vgpr1_vgpr2 killed $sgpr0_sgpr1 killed $exec
	v_add_co_u32 v25, s12, s24, v27
	s_delay_alu instid0(VALU_DEP_1) | instskip(SKIP_3) | instid1(VALU_DEP_2)
	v_add_co_ci_u32_e64 v26, null, s25, 0, s12
	s_add_nc_u64 s[12:13], s[24:25], 9
	s_wait_alu 0xfffe
	v_cmp_le_u64_e64 s12, s[12:13], s[2:3]
	v_cmp_gt_u64_e32 vcc_lo, s[2:3], v[25:26]
	s_wait_kmcnt 0x0
	s_mul_u64 s[2:3], s[10:11], s[26:27]
	s_wait_alu 0xfffe
	s_add_nc_u64 s[2:3], s[2:3], s[22:23]
	s_or_b32 s14, s12, vcc_lo
	s_delay_alu instid0(SALU_CYCLE_1)
	s_and_saveexec_b32 s10, s14
	s_cbranch_execz .LBB0_14
; %bb.13:
	v_mad_co_u64_u32 v[1:2], null, s6, v27, 0
	v_mad_co_u64_u32 v[3:4], null, s4, v28, 0
	v_add_nc_u32_e32 v11, 36, v28
	v_add_nc_u32_e32 v12, 0x48, v28
	s_wait_alu 0xfffe
	s_lshl_b64 s[12:13], s[2:3], 4
	v_add_nc_u32_e32 v16, 0x90, v28
	s_wait_alu 0xfffe
	s_add_nc_u64 s[12:13], s[0:1], s[12:13]
	v_mad_co_u64_u32 v[5:6], null, s4, v11, 0
	v_mad_co_u64_u32 v[7:8], null, s7, v27, v[2:3]
	v_add_nc_u32_e32 v13, 0x6c, v28
	v_add_nc_u32_e32 v19, 0xb4, v28
	s_delay_alu instid0(VALU_DEP_4) | instskip(NEXT) | instid1(VALU_DEP_4)
	v_mad_co_u64_u32 v[8:9], null, s5, v28, v[4:5]
	v_mov_b32_e32 v2, v7
	v_mov_b32_e32 v4, v6
	v_mad_co_u64_u32 v[9:10], null, s4, v12, 0
	s_delay_alu instid0(VALU_DEP_3) | instskip(NEXT) | instid1(VALU_DEP_3)
	v_lshlrev_b64_e32 v[1:2], 4, v[1:2]
	v_mad_co_u64_u32 v[6:7], null, s5, v11, v[4:5]
	v_mov_b32_e32 v4, v8
	v_mad_co_u64_u32 v[7:8], null, s4, v13, 0
	s_wait_alu 0xfffe
	s_delay_alu instid0(VALU_DEP_4) | instskip(NEXT) | instid1(VALU_DEP_3)
	v_add_co_u32 v17, vcc_lo, s12, v1
	v_lshlrev_b64_e32 v[3:4], 4, v[3:4]
	v_add_co_ci_u32_e32 v18, vcc_lo, s13, v2, vcc_lo
	v_mad_co_u64_u32 v[1:2], null, s5, v12, v[10:11]
	v_mov_b32_e32 v2, v8
	v_mad_co_u64_u32 v[11:12], null, s4, v16, 0
	v_lshlrev_b64_e32 v[5:6], 4, v[5:6]
	s_delay_alu instid0(VALU_DEP_3)
	v_mad_co_u64_u32 v[13:14], null, s5, v13, v[2:3]
	v_mad_co_u64_u32 v[14:15], null, s4, v19, 0
	v_add_co_u32 v2, vcc_lo, v17, v3
	s_wait_alu 0xfffd
	v_add_co_ci_u32_e32 v3, vcc_lo, v18, v4, vcc_lo
	v_mov_b32_e32 v4, v12
	s_delay_alu instid0(VALU_DEP_4) | instskip(SKIP_1) | instid1(VALU_DEP_3)
	v_dual_mov_b32 v10, v1 :: v_dual_mov_b32 v1, v15
	v_mov_b32_e32 v8, v13
	v_mad_co_u64_u32 v[12:13], null, s5, v16, v[4:5]
	s_delay_alu instid0(VALU_DEP_3)
	v_lshlrev_b64_e32 v[9:10], 4, v[9:10]
	v_add_co_u32 v4, vcc_lo, v17, v5
	v_mad_co_u64_u32 v[15:16], null, s5, v19, v[1:2]
	s_wait_alu 0xfffd
	v_add_co_ci_u32_e32 v5, vcc_lo, v18, v6, vcc_lo
	v_lshlrev_b64_e32 v[6:7], 4, v[7:8]
	v_add_co_u32 v8, vcc_lo, v17, v9
	s_wait_alu 0xfffd
	v_add_co_ci_u32_e32 v9, vcc_lo, v18, v10, vcc_lo
	v_lshlrev_b64_e32 v[10:11], 4, v[11:12]
	s_delay_alu instid0(VALU_DEP_4) | instskip(SKIP_3) | instid1(VALU_DEP_4)
	v_add_co_u32 v6, vcc_lo, v17, v6
	v_lshlrev_b64_e32 v[12:13], 4, v[14:15]
	s_wait_alu 0xfffd
	v_add_co_ci_u32_e32 v7, vcc_lo, v18, v7, vcc_lo
	v_add_co_u32 v29, vcc_lo, v17, v10
	s_wait_alu 0xfffd
	v_add_co_ci_u32_e32 v30, vcc_lo, v18, v11, vcc_lo
	v_add_co_u32 v31, vcc_lo, v17, v12
	s_wait_alu 0xfffd
	v_add_co_ci_u32_e32 v32, vcc_lo, v18, v13, vcc_lo
	s_clause 0x5
	global_load_b128 v[13:16], v[2:3], off
	global_load_b128 v[21:24], v[4:5], off
	;; [unrolled: 1-line block ×6, first 2 shown]
.LBB0_14:
	s_wait_alu 0xfffe
	s_or_b32 exec_lo, exec_lo, s10
	s_wait_loadcnt 0x0
	v_add_f64_e32 v[29:30], v[3:4], v[19:20]
	v_add_f64_e32 v[31:32], v[1:2], v[17:18]
	v_add_f64_e64 v[33:34], v[17:18], -v[1:2]
	v_add_f64_e64 v[35:36], v[19:20], -v[3:4]
	s_mov_b32 s10, 0xe8584caa
	s_mov_b32 s11, 0xbfebb67a
	;; [unrolled: 1-line block ×3, first 2 shown]
	s_wait_alu 0xfffe
	s_mov_b32 s12, s10
	v_add_f64_e32 v[37:38], v[5:6], v[9:10]
	v_add_f64_e32 v[39:40], v[7:8], v[11:12]
	;; [unrolled: 1-line block ×3, first 2 shown]
	v_add_f64_e64 v[45:46], v[11:12], -v[7:8]
	v_add_f64_e32 v[11:12], v[11:12], v[15:16]
	v_add_f64_e32 v[17:18], v[17:18], v[21:22]
	;; [unrolled: 1-line block ×3, first 2 shown]
	v_add_f64_e64 v[9:10], v[9:10], -v[5:6]
	v_mul_lo_u16 v26, v28, 43
	v_lshlrev_b32_e32 v54, 4, v27
	s_delay_alu instid0(VALU_DEP_2)
	v_lshrrev_b16 v26, 8, v26
	v_fma_f64 v[29:30], v[29:30], -0.5, v[23:24]
	v_fma_f64 v[31:32], v[31:32], -0.5, v[21:22]
	;; [unrolled: 1-line block ×4, first 2 shown]
	v_add_f64_e32 v[5:6], v[5:6], v[43:44]
	v_add_f64_e32 v[7:8], v[7:8], v[11:12]
	;; [unrolled: 1-line block ×4, first 2 shown]
	s_wait_alu 0xfffe
	v_fma_f64 v[41:42], v[33:34], s[12:13], v[29:30]
	v_fma_f64 v[29:30], v[33:34], s[10:11], v[29:30]
	;; [unrolled: 1-line block ×8, first 2 shown]
	v_add_f64_e32 v[1:2], v[11:12], v[5:6]
	v_add_f64_e32 v[3:4], v[17:18], v[7:8]
	v_add_f64_e64 v[5:6], v[5:6], -v[11:12]
	v_add_f64_e64 v[7:8], v[7:8], -v[17:18]
	v_mul_f64_e32 v[23:24], s[10:11], v[41:42]
	v_mul_f64_e32 v[31:32], s[10:11], v[29:30]
	;; [unrolled: 1-line block ×3, first 2 shown]
	v_mul_f64_e32 v[29:30], -0.5, v[29:30]
	s_delay_alu instid0(VALU_DEP_4) | instskip(NEXT) | instid1(VALU_DEP_4)
	v_fma_f64 v[23:24], v[33:34], 0.5, v[23:24]
	v_fma_f64 v[31:32], v[21:22], -0.5, v[31:32]
	s_delay_alu instid0(VALU_DEP_4) | instskip(NEXT) | instid1(VALU_DEP_4)
	v_fma_f64 v[33:34], v[41:42], 0.5, v[35:36]
	v_fma_f64 v[29:30], v[21:22], s[12:13], v[29:30]
	s_delay_alu instid0(VALU_DEP_4) | instskip(NEXT) | instid1(VALU_DEP_4)
	v_add_f64_e32 v[9:10], v[19:20], v[23:24]
	v_add_f64_e32 v[13:14], v[37:38], v[31:32]
	s_delay_alu instid0(VALU_DEP_4) | instskip(NEXT) | instid1(VALU_DEP_4)
	v_add_f64_e32 v[11:12], v[39:40], v[33:34]
	v_add_f64_e32 v[15:16], v[43:44], v[29:30]
	v_add_f64_e64 v[17:18], v[19:20], -v[23:24]
	v_add_f64_e64 v[19:20], v[39:40], -v[33:34]
	;; [unrolled: 1-line block ×4, first 2 shown]
	v_mul_lo_u16 v29, v26, 6
	v_mul_u32_u24_e32 v30, 0x360, v28
	s_delay_alu instid0(VALU_DEP_2) | instskip(NEXT) | instid1(VALU_DEP_2)
	v_sub_nc_u16 v29, v28, v29
	v_add3_u32 v30, 0, v30, v54
	ds_store_b128 v30, v[1:4]
	ds_store_b128 v30, v[9:12] offset:144
	ds_store_b128 v30, v[13:16] offset:288
	;; [unrolled: 1-line block ×5, first 2 shown]
	v_and_b32_e32 v53, 0xff, v29
	global_wb scope:SCOPE_SE
	s_wait_dscnt 0x0
	s_barrier_signal -1
	s_barrier_wait -1
	global_inv scope:SCOPE_SE
	v_mul_u32_u24_e32 v29, 5, v53
	v_mad_i32_i24 v1, 0xfffffd30, v28, v30
	s_delay_alu instid0(VALU_DEP_2)
	v_lshlrev_b32_e32 v29, 4, v29
	s_clause 0x4
	global_load_b128 v[2:5], v29, s[16:17] offset:32
	global_load_b128 v[6:9], v29, s[16:17] offset:64
	global_load_b128 v[10:13], v29, s[16:17]
	global_load_b128 v[14:17], v29, s[16:17] offset:16
	global_load_b128 v[18:21], v29, s[16:17] offset:48
	ds_load_b128 v[29:32], v1 offset:15552
	ds_load_b128 v[33:36], v1 offset:25920
	;; [unrolled: 1-line block ×3, first 2 shown]
	s_wait_loadcnt_dscnt 0x402
	v_mul_f64_e32 v[22:23], v[29:30], v[4:5]
	s_wait_loadcnt_dscnt 0x301
	v_mul_f64_e32 v[41:42], v[33:34], v[8:9]
	;; [unrolled: 2-line block ×3, first 2 shown]
	v_mul_f64_e32 v[4:5], v[31:32], v[4:5]
	v_mul_f64_e32 v[8:9], v[35:36], v[8:9]
	;; [unrolled: 1-line block ×3, first 2 shown]
	v_fma_f64 v[22:23], v[31:32], v[2:3], -v[22:23]
	v_fma_f64 v[31:32], v[35:36], v[6:7], -v[41:42]
	ds_load_b128 v[41:44], v1 offset:10368
	ds_load_b128 v[45:48], v1 offset:20736
	v_fma_f64 v[29:30], v[29:30], v[2:3], v[4:5]
	v_fma_f64 v[6:7], v[33:34], v[6:7], v[8:9]
	v_fma_f64 v[8:9], v[39:40], v[10:11], -v[49:50]
	v_fma_f64 v[10:11], v[37:38], v[10:11], v[12:13]
	s_wait_loadcnt_dscnt 0x101
	v_mul_f64_e32 v[35:36], v[43:44], v[16:17]
	v_mul_f64_e32 v[16:17], v[41:42], v[16:17]
	s_wait_loadcnt_dscnt 0x0
	v_mul_f64_e32 v[51:52], v[47:48], v[20:21]
	v_mul_f64_e32 v[20:21], v[45:46], v[20:21]
	v_add_f64_e32 v[2:3], v[22:23], v[31:32]
	v_add_f64_e64 v[37:38], v[22:23], -v[31:32]
	v_add_f64_e32 v[4:5], v[29:30], v[6:7]
	v_add_f64_e64 v[12:13], v[29:30], -v[6:7]
	v_fma_f64 v[33:34], v[41:42], v[14:15], v[35:36]
	v_fma_f64 v[14:15], v[43:44], v[14:15], -v[16:17]
	v_fma_f64 v[16:17], v[45:46], v[18:19], v[51:52]
	v_fma_f64 v[18:19], v[47:48], v[18:19], -v[20:21]
	v_fma_f64 v[2:3], v[2:3], -0.5, v[8:9]
	v_add_f64_e32 v[8:9], v[8:9], v[22:23]
	v_fma_f64 v[39:40], v[4:5], -0.5, v[10:11]
	v_add_f64_e32 v[10:11], v[10:11], v[29:30]
	v_add_f64_e32 v[20:21], v[33:34], v[16:17]
	;; [unrolled: 1-line block ×3, first 2 shown]
	v_add_f64_e64 v[45:46], v[14:15], -v[18:19]
	v_fma_f64 v[41:42], v[12:13], s[12:13], v[2:3]
	v_fma_f64 v[12:13], v[12:13], s[10:11], v[2:3]
	ds_load_b128 v[2:5], v1
	v_fma_f64 v[22:23], v[37:38], s[12:13], v[39:40]
	v_add_f64_e32 v[6:7], v[10:11], v[6:7]
	v_add_f64_e32 v[8:9], v[8:9], v[31:32]
	global_wb scope:SCOPE_SE
	s_wait_dscnt 0x0
	s_barrier_signal -1
	s_barrier_wait -1
	global_inv scope:SCOPE_SE
	v_add_f64_e32 v[43:44], v[2:3], v[33:34]
	v_add_f64_e32 v[14:15], v[4:5], v[14:15]
	v_add_f64_e64 v[33:34], v[33:34], -v[16:17]
	v_fma_f64 v[2:3], v[20:21], -0.5, v[2:3]
	v_fma_f64 v[4:5], v[35:36], -0.5, v[4:5]
	v_fma_f64 v[20:21], v[37:38], s[10:11], v[39:40]
	v_mul_f64_e32 v[29:30], s[10:11], v[41:42]
	v_mul_f64_e32 v[37:38], 0.5, v[41:42]
	v_mul_f64_e32 v[35:36], s[10:11], v[12:13]
	v_mul_f64_e32 v[12:13], -0.5, v[12:13]
	v_add_f64_e32 v[16:17], v[43:44], v[16:17]
	v_add_f64_e32 v[14:15], v[14:15], v[18:19]
	v_fma_f64 v[18:19], v[45:46], s[10:11], v[2:3]
	v_fma_f64 v[39:40], v[33:34], s[12:13], v[4:5]
	v_fma_f64 v[31:32], v[45:46], s[12:13], v[2:3]
	v_fma_f64 v[33:34], v[33:34], s[10:11], v[4:5]
	v_fma_f64 v[29:30], v[20:21], 0.5, v[29:30]
	v_fma_f64 v[20:21], v[20:21], s[12:13], v[37:38]
	v_fma_f64 v[35:36], v[22:23], -0.5, v[35:36]
	v_fma_f64 v[22:23], v[22:23], s[12:13], v[12:13]
	v_add_f64_e32 v[2:3], v[16:17], v[6:7]
	v_add_f64_e32 v[4:5], v[14:15], v[8:9]
	v_add_f64_e64 v[6:7], v[16:17], -v[6:7]
	v_add_f64_e64 v[8:9], v[14:15], -v[8:9]
	v_add_f64_e32 v[10:11], v[18:19], v[29:30]
	v_add_f64_e32 v[12:13], v[39:40], v[20:21]
	;; [unrolled: 1-line block ×4, first 2 shown]
	v_add_f64_e64 v[18:19], v[18:19], -v[29:30]
	v_add_f64_e64 v[20:21], v[39:40], -v[20:21]
	;; [unrolled: 1-line block ×4, first 2 shown]
	v_and_b32_e32 v22, 0xffff, v26
	s_delay_alu instid0(VALU_DEP_1) | instskip(NEXT) | instid1(VALU_DEP_1)
	v_mad_u32_u24 v22, v22, 36, v53
	v_mul_u32_u24_e32 v22, 0x90, v22
	s_delay_alu instid0(VALU_DEP_1)
	v_add3_u32 v22, 0, v22, v54
	ds_store_b128 v22, v[2:5]
	ds_store_b128 v22, v[10:13] offset:864
	ds_store_b128 v22, v[14:17] offset:1728
	;; [unrolled: 1-line block ×5, first 2 shown]
	global_wb scope:SCOPE_SE
	s_wait_dscnt 0x0
	s_barrier_signal -1
	s_barrier_wait -1
	global_inv scope:SCOPE_SE
	s_and_saveexec_b32 s15, s14
	s_cbranch_execz .LBB0_16
; %bb.15:
	v_mul_lo_u16 v2, v28, 29
	v_and_b32_e32 v0, 0xffff, v0
	s_lshl_b64 s[2:3], s[2:3], 4
	s_wait_alu 0xfffe
	s_add_nc_u64 s[0:1], s[0:1], s[2:3]
	v_lshrrev_b16 v2, 10, v2
	s_delay_alu instid0(VALU_DEP_1) | instskip(NEXT) | instid1(VALU_DEP_1)
	v_mul_lo_u16 v2, v2, 36
	v_sub_nc_u16 v2, v28, v2
	s_delay_alu instid0(VALU_DEP_1) | instskip(NEXT) | instid1(VALU_DEP_1)
	v_and_b32_e32 v2, 0xff, v2
	v_mul_u32_u24_e32 v3, 5, v2
	v_add_nc_u32_e32 v23, 0xb4, v2
	v_mul_lo_u32 v26, v25, v2
	v_add_nc_u32_e32 v28, 0x6c, v2
	v_add_nc_u32_e32 v24, 0x90, v2
	v_lshlrev_b32_e32 v19, 4, v3
	v_mul_lo_u32 v23, v25, v23
	v_add_nc_u32_e32 v29, 0x48, v2
	v_add_nc_u32_e32 v30, 36, v2
	v_mul_lo_u32 v32, v25, v28
	s_clause 0x4
	global_load_b128 v[3:6], v19, s[16:17] offset:496
	global_load_b128 v[7:10], v19, s[16:17] offset:512
	;; [unrolled: 1-line block ×5, first 2 shown]
	v_and_b32_e32 v28, 0xff, v26
	v_lshrrev_b32_e32 v26, 4, v26
	v_mul_lo_u32 v24, v25, v24
	v_mul_lo_u32 v33, v25, v29
	;; [unrolled: 1-line block ×3, first 2 shown]
	v_and_b32_e32 v35, 0xff, v23
	v_lshrrev_b32_e32 v36, 4, v23
	v_lshlrev_b32_e32 v23, 4, v28
	v_and_b32_e32 v28, 0xff0, v26
	v_and_b32_e32 v39, 0xff, v32
	v_lshrrev_b32_e32 v32, 4, v32
	v_and_b32_e32 v37, 0xff, v24
	v_lshrrev_b32_e32 v38, 4, v24
	s_clause 0x1
	global_load_b128 v[23:26], v23, s[8:9]
	global_load_b128 v[28:31], v28, s[8:9] offset:4096
	v_and_b32_e32 v40, 0xff, v33
	v_lshrrev_b32_e32 v33, 4, v33
	v_and_b32_e32 v41, 0xff, v34
	v_lshrrev_b32_e32 v34, 4, v34
	v_lshlrev_b32_e32 v42, 4, v35
	v_lshlrev_b32_e32 v35, 4, v39
	v_and_b32_e32 v44, 0xff0, v36
	v_and_b32_e32 v36, 0xff0, v32
	v_lshlrev_b32_e32 v64, 4, v37
	v_and_b32_e32 v68, 0xff0, v38
	v_lshlrev_b32_e32 v48, 4, v40
	;; [unrolled: 2-line block ×3, first 2 shown]
	v_and_b32_e32 v60, 0xff0, v34
	s_clause 0x9
	global_load_b128 v[32:35], v35, s[8:9]
	global_load_b128 v[36:39], v36, s[8:9] offset:4096
	global_load_b128 v[40:43], v42, s[8:9]
	global_load_b128 v[44:47], v44, s[8:9] offset:4096
	global_load_b128 v[48:51], v48, s[8:9]
	global_load_b128 v[52:55], v52, s[8:9] offset:4096
	global_load_b128 v[56:59], v56, s[8:9]
	global_load_b128 v[60:63], v60, s[8:9] offset:4096
	global_load_b128 v[64:67], v64, s[8:9]
	global_load_b128 v[68:71], v68, s[8:9] offset:4096
	ds_load_b128 v[72:75], v1 offset:10368
	ds_load_b128 v[76:79], v1 offset:15552
	ds_load_b128 v[80:83], v1 offset:25920
	s_wait_loadcnt_dscnt 0x1002
	v_mul_f64_e32 v[84:85], v[72:73], v[5:6]
	v_mul_f64_e32 v[5:6], v[74:75], v[5:6]
	s_wait_loadcnt_dscnt 0xf01
	v_mul_f64_e32 v[86:87], v[76:77], v[9:10]
	v_mul_f64_e32 v[9:10], v[78:79], v[9:10]
	s_delay_alu instid0(VALU_DEP_4)
	v_fma_f64 v[74:75], v[74:75], v[3:4], -v[84:85]
	s_wait_loadcnt_dscnt 0xe00
	v_mul_f64_e32 v[84:85], v[80:81], v[13:14]
	v_fma_f64 v[72:73], v[72:73], v[3:4], v[5:6]
	ds_load_b128 v[3:6], v1 offset:5184
	v_mul_f64_e32 v[13:14], v[82:83], v[13:14]
	v_fma_f64 v[78:79], v[78:79], v[7:8], -v[86:87]
	v_fma_f64 v[76:77], v[76:77], v[7:8], v[9:10]
	ds_load_b128 v[7:10], v1 offset:20736
	s_wait_loadcnt_dscnt 0xd01
	v_mul_f64_e32 v[86:87], v[3:4], v[17:18]
	v_fma_f64 v[82:83], v[82:83], v[11:12], -v[84:85]
	s_wait_loadcnt_dscnt 0xc00
	v_mul_f64_e32 v[84:85], v[7:8], v[21:22]
	v_mul_f64_e32 v[21:22], v[9:10], v[21:22]
	v_fma_f64 v[11:12], v[80:81], v[11:12], v[13:14]
	v_mul_f64_e32 v[13:14], v[5:6], v[17:18]
	v_fma_f64 v[17:18], v[5:6], v[15:16], -v[86:87]
	v_add_f64_e32 v[5:6], v[78:79], v[82:83]
	v_fma_f64 v[9:10], v[9:10], v[19:20], -v[84:85]
	v_fma_f64 v[7:8], v[7:8], v[19:20], v[21:22]
	v_add_f64_e64 v[21:22], v[78:79], -v[82:83]
	v_fma_f64 v[13:14], v[3:4], v[15:16], v[13:14]
	v_add_f64_e32 v[3:4], v[76:77], v[11:12]
	v_add_f64_e64 v[15:16], v[76:77], -v[11:12]
	v_fma_f64 v[5:6], v[5:6], -0.5, v[17:18]
	v_add_f64_e32 v[19:20], v[74:75], v[9:10]
	v_add_f64_e32 v[86:87], v[72:73], v[7:8]
	v_add_f64_e64 v[88:89], v[72:73], -v[7:8]
	v_add_f64_e32 v[17:18], v[17:18], v[78:79]
	v_fma_f64 v[80:81], v[3:4], -0.5, v[13:14]
	v_add_f64_e32 v[13:14], v[13:14], v[76:77]
	v_fma_f64 v[84:85], v[15:16], s[10:11], v[5:6]
	v_fma_f64 v[15:16], v[15:16], s[12:13], v[5:6]
	ds_load_b128 v[3:6], v1
	v_add_f64_e32 v[17:18], v[17:18], v[82:83]
	s_wait_loadcnt 0x2
	v_mul_f64_e32 v[82:83], v[56:57], v[62:63]
	v_add_f64_e32 v[11:12], v[13:14], v[11:12]
	s_wait_dscnt 0x0
	v_add_f64_e32 v[90:91], v[5:6], v[74:75]
	v_add_f64_e64 v[74:75], v[74:75], -v[9:10]
	v_add_f64_e32 v[72:73], v[3:4], v[72:73]
	v_fma_f64 v[5:6], v[19:20], -0.5, v[5:6]
	v_fma_f64 v[19:20], v[21:22], s[12:13], v[80:81]
	v_fma_f64 v[3:4], v[86:87], -0.5, v[3:4]
	v_fma_f64 v[21:22], v[21:22], s[10:11], v[80:81]
	v_mad_co_u64_u32 v[86:87], null, s6, v27, 0
	s_delay_alu instid0(VALU_DEP_1)
	v_mov_b32_e32 v1, v87
	v_mul_f64_e32 v[76:77], -0.5, v[84:85]
	v_mul_f64_e32 v[78:79], s[10:11], v[84:85]
	v_mul_f64_e32 v[80:81], 0.5, v[15:16]
	v_mul_f64_e32 v[15:16], s[10:11], v[15:16]
	v_mul_f64_e32 v[84:85], v[25:26], v[30:31]
	;; [unrolled: 1-line block ×3, first 2 shown]
	v_add_f64_e32 v[9:10], v[90:91], v[9:10]
	v_add_f64_e32 v[7:8], v[72:73], v[7:8]
	v_fma_f64 v[13:14], v[88:89], s[10:11], v[5:6]
	v_fma_f64 v[5:6], v[88:89], s[12:13], v[5:6]
	v_mad_co_u64_u32 v[87:88], null, s7, v27, v[1:2]
	s_wait_loadcnt 0x0
	v_mul_f64_e32 v[88:89], v[64:65], v[70:71]
	v_mul_u32_u24_e32 v27, 0x195, v0
	v_mul_f64_e32 v[0:1], v[42:43], v[46:47]
	s_delay_alu instid0(VALU_DEP_2)
	v_lshrrev_b32_e32 v90, 17, v27
	v_fma_f64 v[72:73], v[19:20], s[12:13], v[76:77]
	v_fma_f64 v[76:77], v[74:75], s[12:13], v[3:4]
	v_fma_f64 v[19:20], v[19:20], -0.5, v[78:79]
	v_fma_f64 v[78:79], v[21:22], s[12:13], v[80:81]
	v_fma_f64 v[3:4], v[74:75], s[10:11], v[3:4]
	v_fma_f64 v[15:16], v[21:22], 0.5, v[15:16]
	v_mul_f64_e32 v[21:22], v[32:33], v[38:39]
	v_mul_f64_e32 v[80:81], v[48:49], v[54:55]
	;; [unrolled: 1-line block ×3, first 2 shown]
	v_fma_f64 v[23:24], v[23:24], v[28:29], -v[84:85]
	v_fma_f64 v[25:26], v[25:26], v[28:29], v[30:31]
	v_mul_f64_e32 v[27:28], v[66:67], v[70:71]
	v_mul_f64_e32 v[29:30], v[34:35], v[38:39]
	v_mul_f64_e32 v[38:39], v[50:51], v[54:55]
	v_mul_lo_u16 v31, 0xd8, v90
	s_delay_alu instid0(VALU_DEP_1)
	v_and_b32_e32 v31, 0xffff, v31
	v_add_f64_e64 v[46:47], v[9:10], -v[17:18]
	v_add_f64_e32 v[9:10], v[9:10], v[17:18]
	v_add_f64_e64 v[17:18], v[7:8], -v[11:12]
	v_add_f64_e32 v[11:12], v[7:8], v[11:12]
	v_fma_f64 v[40:41], v[40:41], v[44:45], -v[0:1]
	v_add_f64_e64 v[54:55], v[13:14], -v[72:73]
	v_add_f64_e32 v[13:14], v[13:14], v[72:73]
	v_add_f64_e64 v[70:71], v[76:77], -v[19:20]
	v_add_f64_e32 v[72:73], v[76:77], v[19:20]
	;; [unrolled: 2-line block ×4, first 2 shown]
	v_mul_f64_e32 v[3:4], v[58:59], v[62:63]
	v_fma_f64 v[5:6], v[34:35], v[36:37], v[21:22]
	v_fma_f64 v[21:22], v[58:59], v[60:61], v[82:83]
	;; [unrolled: 1-line block ×5, first 2 shown]
	v_add_nc_u32_e32 v74, v2, v31
	v_fma_f64 v[29:30], v[32:33], v[36:37], -v[29:30]
	v_fma_f64 v[31:32], v[48:49], v[52:53], -v[38:39]
	v_fma_f64 v[27:28], v[64:65], v[68:69], -v[27:28]
	v_lshlrev_b64_e32 v[42:43], 4, v[86:87]
	v_add_nc_u32_e32 v75, 36, v74
	v_mad_co_u64_u32 v[0:1], null, s4, v74, 0
	v_add_nc_u32_e32 v80, 0x48, v74
	v_add_nc_u32_e32 v81, 0x6c, v74
	;; [unrolled: 1-line block ×3, first 2 shown]
	v_mul_f64_e32 v[38:39], v[11:12], v[25:26]
	v_mul_f64_e32 v[25:26], v[9:10], v[25:26]
	v_add_nc_u32_e32 v83, 0xb4, v74
	v_mad_co_u64_u32 v[44:45], null, s4, v75, 0
	v_mad_co_u64_u32 v[50:51], null, s4, v80, 0
	;; [unrolled: 1-line block ×5, first 2 shown]
	v_add_co_u32 v88, vcc_lo, s0, v42
	s_wait_alu 0xfffd
	v_add_co_ci_u32_e32 v89, vcc_lo, s1, v43, vcc_lo
	v_fma_f64 v[36:37], v[56:57], v[60:61], -v[3:4]
	v_mul_f64_e32 v[2:3], v[17:18], v[5:6]
	v_mul_f64_e32 v[4:5], v[46:47], v[5:6]
	;; [unrolled: 1-line block ×10, first 2 shown]
	v_dual_mov_b32 v8, v59 :: v_dual_mov_b32 v15, v63
	v_mov_b32_e32 v16, v65
	v_mad_co_u64_u32 v[6:7], null, s5, v74, v[1:2]
	v_mov_b32_e32 v1, v45
	v_mov_b32_e32 v7, v51
	s_delay_alu instid0(VALU_DEP_2) | instskip(NEXT) | instid1(VALU_DEP_4)
	v_mad_co_u64_u32 v[42:43], null, s5, v75, v[1:2]
	v_mov_b32_e32 v1, v6
	s_delay_alu instid0(VALU_DEP_3) | instskip(SKIP_2) | instid1(VALU_DEP_4)
	v_mad_co_u64_u32 v[74:75], null, s5, v80, v[7:8]
	v_mad_co_u64_u32 v[80:81], null, s5, v81, v[8:9]
	;; [unrolled: 1-line block ×3, first 2 shown]
	v_lshlrev_b64_e32 v[86:87], 4, v[0:1]
	v_fma_f64 v[0:1], v[17:18], v[29:30], v[4:5]
	v_fma_f64 v[6:7], v[9:10], v[23:24], -v[38:39]
	v_fma_f64 v[4:5], v[11:12], v[23:24], v[25:26]
	v_mad_co_u64_u32 v[82:83], null, s5, v83, v[16:17]
	v_fma_f64 v[18:19], v[19:20], v[36:37], -v[56:57]
	v_fma_f64 v[16:17], v[84:85], v[36:37], v[21:22]
	v_fma_f64 v[14:15], v[13:14], v[31:32], -v[52:53]
	v_fma_f64 v[12:13], v[72:73], v[31:32], v[60:61]
	v_fma_f64 v[2:3], v[46:47], v[29:30], -v[2:3]
	v_fma_f64 v[22:23], v[76:77], v[27:28], -v[66:67]
	v_fma_f64 v[20:21], v[78:79], v[27:28], v[33:34]
	v_fma_f64 v[10:11], v[54:55], v[40:41], -v[48:49]
	v_fma_f64 v[8:9], v[70:71], v[40:41], v[68:69]
	v_mov_b32_e32 v45, v42
	v_mov_b32_e32 v51, v74
	v_mov_b32_e32 v59, v80
	v_add_co_u32 v34, vcc_lo, v88, v86
	s_delay_alu instid0(VALU_DEP_4) | instskip(NEXT) | instid1(VALU_DEP_4)
	v_lshlrev_b64_e32 v[24:25], 4, v[44:45]
	v_lshlrev_b64_e32 v[26:27], 4, v[50:51]
	v_mov_b32_e32 v63, v81
	s_wait_alu 0xfffd
	v_add_co_ci_u32_e32 v35, vcc_lo, v89, v87, vcc_lo
	v_lshlrev_b64_e32 v[28:29], 4, v[58:59]
	v_add_co_u32 v24, vcc_lo, v88, v24
	v_mov_b32_e32 v65, v82
	s_wait_alu 0xfffd
	v_add_co_ci_u32_e32 v25, vcc_lo, v89, v25, vcc_lo
	v_lshlrev_b64_e32 v[30:31], 4, v[62:63]
	v_add_co_u32 v26, vcc_lo, v88, v26
	s_wait_alu 0xfffd
	v_add_co_ci_u32_e32 v27, vcc_lo, v89, v27, vcc_lo
	v_lshlrev_b64_e32 v[32:33], 4, v[64:65]
	v_add_co_u32 v28, vcc_lo, v88, v28
	s_wait_alu 0xfffd
	v_add_co_ci_u32_e32 v29, vcc_lo, v89, v29, vcc_lo
	v_add_co_u32 v30, vcc_lo, v88, v30
	s_wait_alu 0xfffd
	v_add_co_ci_u32_e32 v31, vcc_lo, v89, v31, vcc_lo
	;; [unrolled: 3-line block ×3, first 2 shown]
	s_clause 0x5
	global_store_b128 v[34:35], v[4:7], off
	global_store_b128 v[24:25], v[16:19], off
	;; [unrolled: 1-line block ×6, first 2 shown]
.LBB0_16:
	s_nop 0
	s_sendmsg sendmsg(MSG_DEALLOC_VGPRS)
	s_endpgm
	.section	.rodata,"a",@progbits
	.p2align	6, 0x0
	.amdhsa_kernel fft_rtc_back_len216_factors_6_6_6_wgs_324_tpt_36_dp_ip_CI_sbcc_twdbase8_2step_dirReg
		.amdhsa_group_segment_fixed_size 0
		.amdhsa_private_segment_fixed_size 0
		.amdhsa_kernarg_size 96
		.amdhsa_user_sgpr_count 2
		.amdhsa_user_sgpr_dispatch_ptr 0
		.amdhsa_user_sgpr_queue_ptr 0
		.amdhsa_user_sgpr_kernarg_segment_ptr 1
		.amdhsa_user_sgpr_dispatch_id 0
		.amdhsa_user_sgpr_private_segment_size 0
		.amdhsa_wavefront_size32 1
		.amdhsa_uses_dynamic_stack 0
		.amdhsa_enable_private_segment 0
		.amdhsa_system_sgpr_workgroup_id_x 1
		.amdhsa_system_sgpr_workgroup_id_y 0
		.amdhsa_system_sgpr_workgroup_id_z 0
		.amdhsa_system_sgpr_workgroup_info 0
		.amdhsa_system_vgpr_workitem_id 0
		.amdhsa_next_free_vgpr 92
		.amdhsa_next_free_sgpr 51
		.amdhsa_reserve_vcc 1
		.amdhsa_float_round_mode_32 0
		.amdhsa_float_round_mode_16_64 0
		.amdhsa_float_denorm_mode_32 3
		.amdhsa_float_denorm_mode_16_64 3
		.amdhsa_fp16_overflow 0
		.amdhsa_workgroup_processor_mode 1
		.amdhsa_memory_ordered 1
		.amdhsa_forward_progress 0
		.amdhsa_round_robin_scheduling 0
		.amdhsa_exception_fp_ieee_invalid_op 0
		.amdhsa_exception_fp_denorm_src 0
		.amdhsa_exception_fp_ieee_div_zero 0
		.amdhsa_exception_fp_ieee_overflow 0
		.amdhsa_exception_fp_ieee_underflow 0
		.amdhsa_exception_fp_ieee_inexact 0
		.amdhsa_exception_int_div_zero 0
	.end_amdhsa_kernel
	.text
.Lfunc_end0:
	.size	fft_rtc_back_len216_factors_6_6_6_wgs_324_tpt_36_dp_ip_CI_sbcc_twdbase8_2step_dirReg, .Lfunc_end0-fft_rtc_back_len216_factors_6_6_6_wgs_324_tpt_36_dp_ip_CI_sbcc_twdbase8_2step_dirReg
                                        ; -- End function
	.section	.AMDGPU.csdata,"",@progbits
; Kernel info:
; codeLenInByte = 5164
; NumSgprs: 53
; NumVgprs: 92
; ScratchSize: 0
; MemoryBound: 1
; FloatMode: 240
; IeeeMode: 1
; LDSByteSize: 0 bytes/workgroup (compile time only)
; SGPRBlocks: 6
; VGPRBlocks: 11
; NumSGPRsForWavesPerEU: 53
; NumVGPRsForWavesPerEU: 92
; Occupancy: 14
; WaveLimiterHint : 1
; COMPUTE_PGM_RSRC2:SCRATCH_EN: 0
; COMPUTE_PGM_RSRC2:USER_SGPR: 2
; COMPUTE_PGM_RSRC2:TRAP_HANDLER: 0
; COMPUTE_PGM_RSRC2:TGID_X_EN: 1
; COMPUTE_PGM_RSRC2:TGID_Y_EN: 0
; COMPUTE_PGM_RSRC2:TGID_Z_EN: 0
; COMPUTE_PGM_RSRC2:TIDIG_COMP_CNT: 0
	.text
	.p2alignl 7, 3214868480
	.fill 96, 4, 3214868480
	.type	__hip_cuid_720e2a6c2f290af6,@object ; @__hip_cuid_720e2a6c2f290af6
	.section	.bss,"aw",@nobits
	.globl	__hip_cuid_720e2a6c2f290af6
__hip_cuid_720e2a6c2f290af6:
	.byte	0                               ; 0x0
	.size	__hip_cuid_720e2a6c2f290af6, 1

	.ident	"AMD clang version 19.0.0git (https://github.com/RadeonOpenCompute/llvm-project roc-6.4.0 25133 c7fe45cf4b819c5991fe208aaa96edf142730f1d)"
	.section	".note.GNU-stack","",@progbits
	.addrsig
	.addrsig_sym __hip_cuid_720e2a6c2f290af6
	.amdgpu_metadata
---
amdhsa.kernels:
  - .args:
      - .actual_access:  read_only
        .address_space:  global
        .offset:         0
        .size:           8
        .value_kind:     global_buffer
      - .address_space:  global
        .offset:         8
        .size:           8
        .value_kind:     global_buffer
      - .offset:         16
        .size:           8
        .value_kind:     by_value
      - .actual_access:  read_only
        .address_space:  global
        .offset:         24
        .size:           8
        .value_kind:     global_buffer
      - .actual_access:  read_only
        .address_space:  global
        .offset:         32
        .size:           8
        .value_kind:     global_buffer
      - .offset:         40
        .size:           8
        .value_kind:     by_value
      - .actual_access:  read_only
        .address_space:  global
        .offset:         48
        .size:           8
        .value_kind:     global_buffer
      - .actual_access:  read_only
        .address_space:  global
        .offset:         56
        .size:           8
        .value_kind:     global_buffer
      - .offset:         64
        .size:           4
        .value_kind:     by_value
      - .actual_access:  read_only
        .address_space:  global
        .offset:         72
        .size:           8
        .value_kind:     global_buffer
      - .actual_access:  read_only
        .address_space:  global
        .offset:         80
        .size:           8
        .value_kind:     global_buffer
      - .address_space:  global
        .offset:         88
        .size:           8
        .value_kind:     global_buffer
    .group_segment_fixed_size: 0
    .kernarg_segment_align: 8
    .kernarg_segment_size: 96
    .language:       OpenCL C
    .language_version:
      - 2
      - 0
    .max_flat_workgroup_size: 324
    .name:           fft_rtc_back_len216_factors_6_6_6_wgs_324_tpt_36_dp_ip_CI_sbcc_twdbase8_2step_dirReg
    .private_segment_fixed_size: 0
    .sgpr_count:     53
    .sgpr_spill_count: 0
    .symbol:         fft_rtc_back_len216_factors_6_6_6_wgs_324_tpt_36_dp_ip_CI_sbcc_twdbase8_2step_dirReg.kd
    .uniform_work_group_size: 1
    .uses_dynamic_stack: false
    .vgpr_count:     92
    .vgpr_spill_count: 0
    .wavefront_size: 32
    .workgroup_processor_mode: 1
amdhsa.target:   amdgcn-amd-amdhsa--gfx1201
amdhsa.version:
  - 1
  - 2
...

	.end_amdgpu_metadata
